;; amdgpu-corpus repo=ROCm/rocFFT kind=compiled arch=gfx1201 opt=O3
	.text
	.amdgcn_target "amdgcn-amd-amdhsa--gfx1201"
	.amdhsa_code_object_version 6
	.protected	fft_rtc_fwd_len448_factors_8_7_8_wgs_128_tpt_64_half_op_CI_CI_unitstride_sbrr_R2C_dirReg ; -- Begin function fft_rtc_fwd_len448_factors_8_7_8_wgs_128_tpt_64_half_op_CI_CI_unitstride_sbrr_R2C_dirReg
	.globl	fft_rtc_fwd_len448_factors_8_7_8_wgs_128_tpt_64_half_op_CI_CI_unitstride_sbrr_R2C_dirReg
	.p2align	8
	.type	fft_rtc_fwd_len448_factors_8_7_8_wgs_128_tpt_64_half_op_CI_CI_unitstride_sbrr_R2C_dirReg,@function
fft_rtc_fwd_len448_factors_8_7_8_wgs_128_tpt_64_half_op_CI_CI_unitstride_sbrr_R2C_dirReg: ; @fft_rtc_fwd_len448_factors_8_7_8_wgs_128_tpt_64_half_op_CI_CI_unitstride_sbrr_R2C_dirReg
; %bb.0:
	s_clause 0x2
	s_load_b128 s[8:11], s[0:1], 0x0
	s_load_b128 s[4:7], s[0:1], 0x58
	;; [unrolled: 1-line block ×3, first 2 shown]
	v_lshrrev_b32_e32 v1, 6, v0
	v_mov_b32_e32 v3, 0
	v_mov_b32_e32 v7, 0
	;; [unrolled: 1-line block ×3, first 2 shown]
	s_delay_alu instid0(VALU_DEP_4) | instskip(NEXT) | instid1(VALU_DEP_4)
	v_lshl_or_b32 v9, ttmp9, 1, v1
	v_mov_b32_e32 v10, v3
	s_wait_kmcnt 0x0
	v_cmp_lt_u64_e64 s2, s[10:11], 2
	s_delay_alu instid0(VALU_DEP_1)
	s_and_b32 vcc_lo, exec_lo, s2
	s_cbranch_vccnz .LBB0_8
; %bb.1:
	s_load_b64 s[2:3], s[0:1], 0x10
	v_mov_b32_e32 v7, 0
	v_mov_b32_e32 v8, 0
	s_delay_alu instid0(VALU_DEP_2)
	v_mov_b32_e32 v1, v7
	s_add_nc_u64 s[16:17], s[14:15], 8
	s_add_nc_u64 s[18:19], s[12:13], 8
	s_mov_b64 s[20:21], 1
	v_mov_b32_e32 v2, v8
	s_wait_kmcnt 0x0
	s_add_nc_u64 s[22:23], s[2:3], 8
	s_mov_b32 s3, 0
.LBB0_2:                                ; =>This Inner Loop Header: Depth=1
	s_load_b64 s[24:25], s[22:23], 0x0
                                        ; implicit-def: $vgpr5_vgpr6
	s_mov_b32 s2, exec_lo
	s_wait_kmcnt 0x0
	v_or_b32_e32 v4, s25, v10
	s_delay_alu instid0(VALU_DEP_1)
	v_cmpx_ne_u64_e32 0, v[3:4]
	s_wait_alu 0xfffe
	s_xor_b32 s26, exec_lo, s2
	s_cbranch_execz .LBB0_4
; %bb.3:                                ;   in Loop: Header=BB0_2 Depth=1
	s_cvt_f32_u32 s2, s24
	s_cvt_f32_u32 s27, s25
	s_sub_nc_u64 s[30:31], 0, s[24:25]
	s_wait_alu 0xfffe
	s_delay_alu instid0(SALU_CYCLE_1) | instskip(SKIP_1) | instid1(SALU_CYCLE_2)
	s_fmamk_f32 s2, s27, 0x4f800000, s2
	s_wait_alu 0xfffe
	v_s_rcp_f32 s2, s2
	s_delay_alu instid0(TRANS32_DEP_1) | instskip(SKIP_1) | instid1(SALU_CYCLE_2)
	s_mul_f32 s2, s2, 0x5f7ffffc
	s_wait_alu 0xfffe
	s_mul_f32 s27, s2, 0x2f800000
	s_wait_alu 0xfffe
	s_delay_alu instid0(SALU_CYCLE_2) | instskip(SKIP_1) | instid1(SALU_CYCLE_2)
	s_trunc_f32 s27, s27
	s_wait_alu 0xfffe
	s_fmamk_f32 s2, s27, 0xcf800000, s2
	s_cvt_u32_f32 s29, s27
	s_wait_alu 0xfffe
	s_delay_alu instid0(SALU_CYCLE_1) | instskip(SKIP_1) | instid1(SALU_CYCLE_2)
	s_cvt_u32_f32 s28, s2
	s_wait_alu 0xfffe
	s_mul_u64 s[34:35], s[30:31], s[28:29]
	s_wait_alu 0xfffe
	s_mul_hi_u32 s37, s28, s35
	s_mul_i32 s36, s28, s35
	s_mul_hi_u32 s2, s28, s34
	s_mul_i32 s33, s29, s34
	s_wait_alu 0xfffe
	s_add_nc_u64 s[36:37], s[2:3], s[36:37]
	s_mul_hi_u32 s27, s29, s34
	s_mul_hi_u32 s38, s29, s35
	s_add_co_u32 s2, s36, s33
	s_wait_alu 0xfffe
	s_add_co_ci_u32 s2, s37, s27
	s_mul_i32 s34, s29, s35
	s_add_co_ci_u32 s35, s38, 0
	s_wait_alu 0xfffe
	s_add_nc_u64 s[34:35], s[2:3], s[34:35]
	s_wait_alu 0xfffe
	v_add_co_u32 v4, s2, s28, s34
	s_delay_alu instid0(VALU_DEP_1) | instskip(SKIP_1) | instid1(VALU_DEP_1)
	s_cmp_lg_u32 s2, 0
	s_add_co_ci_u32 s29, s29, s35
	v_readfirstlane_b32 s28, v4
	s_wait_alu 0xfffe
	s_delay_alu instid0(VALU_DEP_1)
	s_mul_u64 s[30:31], s[30:31], s[28:29]
	s_wait_alu 0xfffe
	s_mul_hi_u32 s35, s28, s31
	s_mul_i32 s34, s28, s31
	s_mul_hi_u32 s2, s28, s30
	s_mul_i32 s33, s29, s30
	s_wait_alu 0xfffe
	s_add_nc_u64 s[34:35], s[2:3], s[34:35]
	s_mul_hi_u32 s27, s29, s30
	s_mul_hi_u32 s28, s29, s31
	s_wait_alu 0xfffe
	s_add_co_u32 s2, s34, s33
	s_add_co_ci_u32 s2, s35, s27
	s_mul_i32 s30, s29, s31
	s_add_co_ci_u32 s31, s28, 0
	s_wait_alu 0xfffe
	s_add_nc_u64 s[30:31], s[2:3], s[30:31]
	s_wait_alu 0xfffe
	v_add_co_u32 v6, s2, v4, s30
	s_delay_alu instid0(VALU_DEP_1) | instskip(SKIP_1) | instid1(VALU_DEP_1)
	s_cmp_lg_u32 s2, 0
	s_add_co_ci_u32 s2, s29, s31
	v_mul_hi_u32 v15, v9, v6
	s_wait_alu 0xfffe
	v_mad_co_u64_u32 v[4:5], null, v9, s2, 0
	v_mad_co_u64_u32 v[11:12], null, v10, v6, 0
	;; [unrolled: 1-line block ×3, first 2 shown]
	s_delay_alu instid0(VALU_DEP_3) | instskip(SKIP_1) | instid1(VALU_DEP_4)
	v_add_co_u32 v4, vcc_lo, v15, v4
	s_wait_alu 0xfffd
	v_add_co_ci_u32_e32 v5, vcc_lo, 0, v5, vcc_lo
	s_delay_alu instid0(VALU_DEP_2) | instskip(SKIP_1) | instid1(VALU_DEP_2)
	v_add_co_u32 v4, vcc_lo, v4, v11
	s_wait_alu 0xfffd
	v_add_co_ci_u32_e32 v4, vcc_lo, v5, v12, vcc_lo
	s_wait_alu 0xfffd
	v_add_co_ci_u32_e32 v5, vcc_lo, 0, v14, vcc_lo
	s_delay_alu instid0(VALU_DEP_2) | instskip(SKIP_1) | instid1(VALU_DEP_2)
	v_add_co_u32 v11, vcc_lo, v4, v13
	s_wait_alu 0xfffd
	v_add_co_ci_u32_e32 v6, vcc_lo, 0, v5, vcc_lo
	s_delay_alu instid0(VALU_DEP_2) | instskip(SKIP_1) | instid1(VALU_DEP_3)
	v_mul_lo_u32 v12, s25, v11
	v_mad_co_u64_u32 v[4:5], null, s24, v11, 0
	v_mul_lo_u32 v13, s24, v6
	s_delay_alu instid0(VALU_DEP_2) | instskip(NEXT) | instid1(VALU_DEP_2)
	v_sub_co_u32 v4, vcc_lo, v9, v4
	v_add3_u32 v5, v5, v13, v12
	s_delay_alu instid0(VALU_DEP_1) | instskip(SKIP_1) | instid1(VALU_DEP_1)
	v_sub_nc_u32_e32 v12, v10, v5
	s_wait_alu 0xfffd
	v_subrev_co_ci_u32_e64 v12, s2, s25, v12, vcc_lo
	v_add_co_u32 v13, s2, v11, 2
	s_wait_alu 0xf1ff
	v_add_co_ci_u32_e64 v14, s2, 0, v6, s2
	v_sub_co_u32 v15, s2, v4, s24
	v_sub_co_ci_u32_e32 v5, vcc_lo, v10, v5, vcc_lo
	s_wait_alu 0xf1ff
	v_subrev_co_ci_u32_e64 v12, s2, 0, v12, s2
	s_delay_alu instid0(VALU_DEP_3) | instskip(NEXT) | instid1(VALU_DEP_3)
	v_cmp_le_u32_e32 vcc_lo, s24, v15
	v_cmp_eq_u32_e64 s2, s25, v5
	s_wait_alu 0xfffd
	v_cndmask_b32_e64 v15, 0, -1, vcc_lo
	v_cmp_le_u32_e32 vcc_lo, s25, v12
	s_wait_alu 0xfffd
	v_cndmask_b32_e64 v16, 0, -1, vcc_lo
	v_cmp_le_u32_e32 vcc_lo, s24, v4
	;; [unrolled: 3-line block ×3, first 2 shown]
	s_wait_alu 0xfffd
	v_cndmask_b32_e64 v17, 0, -1, vcc_lo
	v_cmp_eq_u32_e32 vcc_lo, s25, v12
	s_wait_alu 0xf1ff
	s_delay_alu instid0(VALU_DEP_2)
	v_cndmask_b32_e64 v4, v17, v4, s2
	s_wait_alu 0xfffd
	v_cndmask_b32_e32 v12, v16, v15, vcc_lo
	v_add_co_u32 v15, vcc_lo, v11, 1
	s_wait_alu 0xfffd
	v_add_co_ci_u32_e32 v16, vcc_lo, 0, v6, vcc_lo
	s_delay_alu instid0(VALU_DEP_3) | instskip(SKIP_1) | instid1(VALU_DEP_2)
	v_cmp_ne_u32_e32 vcc_lo, 0, v12
	s_wait_alu 0xfffd
	v_dual_cndmask_b32 v5, v16, v14 :: v_dual_cndmask_b32 v12, v15, v13
	v_cmp_ne_u32_e32 vcc_lo, 0, v4
	s_wait_alu 0xfffd
	s_delay_alu instid0(VALU_DEP_2)
	v_dual_cndmask_b32 v6, v6, v5 :: v_dual_cndmask_b32 v5, v11, v12
.LBB0_4:                                ;   in Loop: Header=BB0_2 Depth=1
	s_wait_alu 0xfffe
	s_and_not1_saveexec_b32 s2, s26
	s_cbranch_execz .LBB0_6
; %bb.5:                                ;   in Loop: Header=BB0_2 Depth=1
	v_cvt_f32_u32_e32 v4, s24
	s_sub_co_i32 s26, 0, s24
	s_delay_alu instid0(VALU_DEP_1) | instskip(NEXT) | instid1(TRANS32_DEP_1)
	v_rcp_iflag_f32_e32 v4, v4
	v_mul_f32_e32 v4, 0x4f7ffffe, v4
	s_delay_alu instid0(VALU_DEP_1) | instskip(SKIP_1) | instid1(VALU_DEP_1)
	v_cvt_u32_f32_e32 v4, v4
	s_wait_alu 0xfffe
	v_mul_lo_u32 v5, s26, v4
	s_delay_alu instid0(VALU_DEP_1) | instskip(NEXT) | instid1(VALU_DEP_1)
	v_mul_hi_u32 v5, v4, v5
	v_add_nc_u32_e32 v4, v4, v5
	s_delay_alu instid0(VALU_DEP_1) | instskip(NEXT) | instid1(VALU_DEP_1)
	v_mul_hi_u32 v4, v9, v4
	v_mul_lo_u32 v5, v4, s24
	v_add_nc_u32_e32 v6, 1, v4
	s_delay_alu instid0(VALU_DEP_2) | instskip(NEXT) | instid1(VALU_DEP_1)
	v_sub_nc_u32_e32 v5, v9, v5
	v_subrev_nc_u32_e32 v11, s24, v5
	v_cmp_le_u32_e32 vcc_lo, s24, v5
	s_wait_alu 0xfffd
	s_delay_alu instid0(VALU_DEP_2) | instskip(NEXT) | instid1(VALU_DEP_1)
	v_dual_cndmask_b32 v5, v5, v11 :: v_dual_cndmask_b32 v4, v4, v6
	v_cmp_le_u32_e32 vcc_lo, s24, v5
	s_delay_alu instid0(VALU_DEP_2) | instskip(SKIP_1) | instid1(VALU_DEP_1)
	v_add_nc_u32_e32 v6, 1, v4
	s_wait_alu 0xfffd
	v_dual_cndmask_b32 v5, v4, v6 :: v_dual_mov_b32 v6, v3
.LBB0_6:                                ;   in Loop: Header=BB0_2 Depth=1
	s_wait_alu 0xfffe
	s_or_b32 exec_lo, exec_lo, s2
	s_delay_alu instid0(VALU_DEP_1) | instskip(NEXT) | instid1(VALU_DEP_2)
	v_mul_lo_u32 v4, v6, s24
	v_mul_lo_u32 v13, v5, s25
	s_load_b64 s[26:27], s[18:19], 0x0
	v_mad_co_u64_u32 v[11:12], null, v5, s24, 0
	s_load_b64 s[24:25], s[16:17], 0x0
	s_add_nc_u64 s[20:21], s[20:21], 1
	s_add_nc_u64 s[16:17], s[16:17], 8
	s_wait_alu 0xfffe
	v_cmp_ge_u64_e64 s2, s[20:21], s[10:11]
	s_add_nc_u64 s[18:19], s[18:19], 8
	s_add_nc_u64 s[22:23], s[22:23], 8
	v_add3_u32 v4, v12, v13, v4
	v_sub_co_u32 v9, vcc_lo, v9, v11
	s_wait_alu 0xfffd
	s_delay_alu instid0(VALU_DEP_2) | instskip(SKIP_2) | instid1(VALU_DEP_1)
	v_sub_co_ci_u32_e32 v4, vcc_lo, v10, v4, vcc_lo
	s_and_b32 vcc_lo, exec_lo, s2
	s_wait_kmcnt 0x0
	v_mul_lo_u32 v10, s26, v4
	v_mul_lo_u32 v11, s27, v9
	v_mad_co_u64_u32 v[7:8], null, s26, v9, v[7:8]
	v_mul_lo_u32 v4, s24, v4
	v_mul_lo_u32 v12, s25, v9
	v_mad_co_u64_u32 v[1:2], null, s24, v9, v[1:2]
	s_delay_alu instid0(VALU_DEP_4) | instskip(NEXT) | instid1(VALU_DEP_2)
	v_add3_u32 v8, v11, v8, v10
	v_add3_u32 v2, v12, v2, v4
	s_wait_alu 0xfffe
	s_cbranch_vccnz .LBB0_9
; %bb.7:                                ;   in Loop: Header=BB0_2 Depth=1
	v_dual_mov_b32 v10, v6 :: v_dual_mov_b32 v9, v5
	s_branch .LBB0_2
.LBB0_8:
	v_dual_mov_b32 v1, v7 :: v_dual_mov_b32 v2, v8
	v_dual_mov_b32 v5, v9 :: v_dual_mov_b32 v6, v10
.LBB0_9:
	s_load_b64 s[2:3], s[0:1], 0x28
	v_and_b32_e32 v3, 64, v0
	s_delay_alu instid0(VALU_DEP_1) | instskip(SKIP_4) | instid1(VALU_DEP_1)
	v_cmp_ne_u32_e64 s0, 0, v3
	v_and_b32_e32 v3, 63, v0
	s_wait_kmcnt 0x0
	v_cmp_gt_u64_e32 vcc_lo, s[2:3], v[5:6]
	v_cmp_le_u64_e64 s1, s[2:3], v[5:6]
	s_and_saveexec_b32 s2, s1
	s_wait_alu 0xfffe
	s_xor_b32 s1, exec_lo, s2
; %bb.10:
	v_and_b32_e32 v3, 63, v0
                                        ; implicit-def: $vgpr7_vgpr8
; %bb.11:
	s_wait_alu 0xfffe
	s_or_saveexec_b32 s1, s1
	v_cndmask_b32_e64 v4, 0, 0x1c1, s0
	s_lshl_b64 s[2:3], s[10:11], 3
	s_delay_alu instid0(VALU_DEP_1)
	v_lshlrev_b32_e32 v11, 2, v4
	s_wait_alu 0xfffe
	s_xor_b32 exec_lo, exec_lo, s1
	s_cbranch_execz .LBB0_13
; %bb.12:
	s_add_nc_u64 s[10:11], s[12:13], s[2:3]
	v_lshlrev_b64_e32 v[7:8], 2, v[7:8]
	s_load_b64 s[10:11], s[10:11], 0x0
	s_wait_kmcnt 0x0
	v_mul_lo_u32 v4, s11, v5
	v_mul_lo_u32 v12, s10, v6
	v_mad_co_u64_u32 v[9:10], null, s10, v5, 0
	s_delay_alu instid0(VALU_DEP_1) | instskip(NEXT) | instid1(VALU_DEP_1)
	v_add3_u32 v10, v10, v12, v4
	v_lshlrev_b64_e32 v[9:10], 2, v[9:10]
	s_delay_alu instid0(VALU_DEP_1) | instskip(SKIP_1) | instid1(VALU_DEP_2)
	v_add_co_u32 v4, s0, s4, v9
	s_wait_alu 0xf1ff
	v_add_co_ci_u32_e64 v9, s0, s5, v10, s0
	v_lshlrev_b32_e32 v10, 2, v3
	s_delay_alu instid0(VALU_DEP_3) | instskip(SKIP_1) | instid1(VALU_DEP_3)
	v_add_co_u32 v4, s0, v4, v7
	s_wait_alu 0xf1ff
	v_add_co_ci_u32_e64 v8, s0, v9, v8, s0
	s_delay_alu instid0(VALU_DEP_2) | instskip(SKIP_1) | instid1(VALU_DEP_2)
	v_add_co_u32 v7, s0, v4, v10
	s_wait_alu 0xf1ff
	v_add_co_ci_u32_e64 v8, s0, 0, v8, s0
	s_clause 0x6
	global_load_b32 v4, v[7:8], off
	global_load_b32 v9, v[7:8], off offset:256
	global_load_b32 v12, v[7:8], off offset:512
	;; [unrolled: 1-line block ×6, first 2 shown]
	v_add3_u32 v8, 0, v11, v10
	s_wait_loadcnt 0x5
	ds_store_2addr_stride64_b32 v8, v4, v9 offset1:1
	s_wait_loadcnt 0x3
	ds_store_2addr_stride64_b32 v8, v12, v13 offset0:2 offset1:3
	s_wait_loadcnt 0x1
	ds_store_2addr_stride64_b32 v8, v14, v15 offset0:4 offset1:5
	s_wait_loadcnt 0x0
	ds_store_b32 v8, v7 offset:1536
.LBB0_13:
	s_or_b32 exec_lo, exec_lo, s1
	v_lshlrev_b32_e32 v4, 2, v3
	v_add_nc_u32_e32 v13, 0, v11
	global_wb scope:SCOPE_SE
	s_wait_dscnt 0x0
	s_barrier_signal -1
	s_barrier_wait -1
	v_add_nc_u32_e32 v12, 0, v4
	v_add_nc_u32_e32 v14, v13, v4
	global_inv scope:SCOPE_SE
	v_cmp_gt_u32_e64 s0, 56, v3
	s_add_nc_u64 s[2:3], s[14:15], s[2:3]
	v_add_nc_u32_e32 v15, v12, v11
	s_delay_alu instid0(VALU_DEP_1)
	v_add_nc_u32_e32 v16, 0x400, v15
	ds_load_2addr_b32 v[7:8], v15 offset0:56 offset1:112
	ds_load_2addr_b32 v[9:10], v15 offset0:168 offset1:224
	ds_load_b32 v18, v14
	ds_load_b32 v20, v15 offset:1568
	ds_load_2addr_b32 v[16:17], v16 offset0:24 offset1:80
	global_wb scope:SCOPE_SE
	s_wait_dscnt 0x0
	s_barrier_signal -1
	s_barrier_wait -1
	global_inv scope:SCOPE_SE
	v_pk_add_f16 v19, v18, v10 neg_lo:[0,1] neg_hi:[0,1]
	v_pk_add_f16 v21, v9, v20 neg_lo:[0,1] neg_hi:[0,1]
	v_pk_add_f16 v20, v8, v17 neg_lo:[0,1] neg_hi:[0,1]
	v_pk_add_f16 v23, v7, v16 neg_lo:[0,1] neg_hi:[0,1]
	s_delay_alu instid0(VALU_DEP_4) | instskip(NEXT) | instid1(VALU_DEP_4)
	v_lshrrev_b32_e32 v22, 16, v19
	v_lshrrev_b32_e32 v16, 16, v21
	s_delay_alu instid0(VALU_DEP_4) | instskip(NEXT) | instid1(VALU_DEP_4)
	v_lshrrev_b32_e32 v17, 16, v20
	v_lshrrev_b32_e32 v25, 16, v23
	s_delay_alu instid0(VALU_DEP_4) | instskip(NEXT) | instid1(VALU_DEP_4)
	v_add_f16_e32 v10, v22, v20
	v_sub_f16_e32 v26, v23, v16
	s_delay_alu instid0(VALU_DEP_4) | instskip(NEXT) | instid1(VALU_DEP_4)
	v_sub_f16_e32 v24, v19, v17
	v_add_f16_e32 v27, v25, v21
	s_delay_alu instid0(VALU_DEP_2) | instskip(NEXT) | instid1(VALU_DEP_2)
	v_fmamk_f16 v16, v26, 0x39a8, v24
	v_fmamk_f16 v17, v27, 0x39a8, v10
	s_delay_alu instid0(VALU_DEP_2) | instskip(NEXT) | instid1(VALU_DEP_2)
	v_fmac_f16_e32 v16, 0xb9a8, v27
	v_fmac_f16_e32 v17, 0x39a8, v26
	s_and_saveexec_b32 s1, s0
	s_cbranch_execz .LBB0_15
; %bb.14:
	v_fma_f16 v28, v19, 2.0, -v24
	v_fma_f16 v26, v23, 2.0, -v26
	v_pk_fma_f16 v7, v7, 2.0, v23 op_sel_hi:[1,0,1] neg_lo:[0,0,1] neg_hi:[0,0,1]
	v_pk_fma_f16 v9, v9, 2.0, v21 op_sel_hi:[1,0,1] neg_lo:[0,0,1] neg_hi:[0,0,1]
	;; [unrolled: 1-line block ×4, first 2 shown]
	v_fma_f16 v25, v25, 2.0, -v27
	v_fma_f16 v19, v22, 2.0, -v10
	v_fmamk_f16 v21, v26, 0xb9a8, v28
	v_pk_add_f16 v9, v7, v9 neg_lo:[0,1] neg_hi:[0,1]
	v_pk_add_f16 v8, v18, v8 neg_lo:[0,1] neg_hi:[0,1]
	v_fma_f16 v22, v24, 2.0, -v16
	v_fmamk_f16 v20, v25, 0xb9a8, v19
	v_fmac_f16_e32 v21, 0xb9a8, v25
	v_lshrrev_b32_e32 v23, 16, v9
	v_lshrrev_b32_e32 v25, 16, v8
	v_pk_fma_f16 v18, v18, 2.0, v8 op_sel_hi:[1,0,1] neg_lo:[0,0,1] neg_hi:[0,0,1]
	v_fmac_f16_e32 v20, 0x39a8, v26
	v_pk_fma_f16 v7, v7, 2.0, v9 op_sel_hi:[1,0,1] neg_lo:[0,0,1] neg_hi:[0,0,1]
	v_sub_f16_e32 v23, v8, v23
	v_add_f16_e32 v9, v25, v9
	v_fma_f16 v24, v28, 2.0, -v21
	v_fma_f16 v19, v19, 2.0, -v20
	v_mul_u32_u24_e32 v26, 28, v3
	v_pk_add_f16 v7, v18, v7 neg_lo:[0,1] neg_hi:[0,1]
	v_fma_f16 v8, v8, 2.0, -v23
	v_fma_f16 v25, v25, 2.0, -v9
	;; [unrolled: 1-line block ×3, first 2 shown]
	v_add3_u32 v12, v12, v26, v11
	v_pk_fma_f16 v18, v18, 2.0, v7 op_sel_hi:[1,0,1] neg_lo:[0,0,1] neg_hi:[0,0,1]
	v_pack_b32_f16 v19, v24, v19
	v_pack_b32_f16 v8, v8, v25
	;; [unrolled: 1-line block ×5, first 2 shown]
	v_perm_b32 v21, v17, v16, 0x5040100
	ds_store_2addr_b32 v12, v18, v19 offset1:1
	ds_store_2addr_b32 v12, v8, v10 offset0:2 offset1:3
	ds_store_2addr_b32 v12, v7, v20 offset0:4 offset1:5
	;; [unrolled: 1-line block ×3, first 2 shown]
.LBB0_15:
	s_wait_alu 0xfffe
	s_or_b32 exec_lo, exec_lo, s1
	v_and_b32_e32 v0, 7, v0
	s_load_b64 s[2:3], s[2:3], 0x0
	global_wb scope:SCOPE_SE
	s_wait_dscnt 0x0
	s_wait_kmcnt 0x0
	s_barrier_signal -1
	s_barrier_wait -1
	v_mul_u32_u24_e32 v7, 6, v0
	global_inv scope:SCOPE_SE
	v_lshlrev_b32_e32 v12, 2, v7
	s_clause 0x1
	global_load_b128 v[7:10], v12, s[8:9]
	global_load_b64 v[18:19], v12, s[8:9] offset:16
	ds_load_2addr_stride64_b32 v[20:21], v15 offset0:1 offset1:2
	ds_load_2addr_stride64_b32 v[22:23], v15 offset0:3 offset1:4
	;; [unrolled: 1-line block ×3, first 2 shown]
	v_lshrrev_b32_e32 v12, 3, v3
	ds_load_b32 v26, v14
	global_wb scope:SCOPE_SE
	s_wait_loadcnt_dscnt 0x0
	s_barrier_signal -1
	s_barrier_wait -1
	v_mul_u32_u24_e32 v12, 56, v12
	global_inv scope:SCOPE_SE
	v_or_b32_e32 v0, v12, v0
	s_delay_alu instid0(VALU_DEP_1)
	v_lshlrev_b32_e32 v0, 2, v0
	v_lshrrev_b32_e32 v12, 16, v20
	v_lshrrev_b32_e32 v27, 16, v21
	;; [unrolled: 1-line block ×6, first 2 shown]
	v_add3_u32 v33, 0, v0, v11
	v_lshrrev_b32_e32 v32, 16, v26
	v_lshrrev_b32_e32 v0, 16, v7
	;; [unrolled: 1-line block ×7, first 2 shown]
	v_mul_f16_e32 v38, v0, v12
	v_mul_f16_e32 v0, v0, v20
	;; [unrolled: 1-line block ×12, first 2 shown]
	v_fma_f16 v20, v7, v20, -v38
	v_fmac_f16_e32 v0, v7, v12
	v_fma_f16 v7, v8, v21, -v39
	v_fmac_f16_e32 v11, v8, v27
	;; [unrolled: 2-line block ×3, first 2 shown]
	v_fma_f16 v9, v10, v23, -v41
	v_fma_f16 v12, v19, v25, -v43
	v_fmac_f16_e32 v37, v19, v31
	v_fmac_f16_e32 v35, v10, v29
	v_fma_f16 v10, v18, v24, -v42
	v_fmac_f16_e32 v36, v18, v30
	v_add_f16_e32 v18, v20, v12
	v_add_f16_e32 v19, v0, v37
	v_sub_f16_e32 v12, v20, v12
	v_add_f16_e32 v20, v7, v10
	v_add_f16_e32 v21, v11, v36
	v_sub_f16_e32 v7, v7, v10
	v_sub_f16_e32 v10, v11, v36
	v_add_f16_e32 v11, v8, v9
	v_add_f16_e32 v22, v34, v35
	v_sub_f16_e32 v8, v9, v8
	;; [unrolled: 4-line block ×3, first 2 shown]
	v_sub_f16_e32 v25, v20, v18
	v_sub_f16_e32 v27, v21, v19
	;; [unrolled: 1-line block ×6, first 2 shown]
	v_add_f16_e32 v28, v8, v7
	v_add_f16_e32 v29, v9, v10
	v_sub_f16_e32 v30, v8, v7
	v_sub_f16_e32 v31, v9, v10
	v_sub_f16_e32 v7, v7, v12
	v_add_f16_e32 v11, v11, v23
	v_add_f16_e32 v22, v22, v24
	v_sub_f16_e32 v10, v10, v0
	v_sub_f16_e32 v8, v12, v8
	;; [unrolled: 1-line block ×3, first 2 shown]
	v_add_f16_e32 v12, v28, v12
	v_add_f16_e32 v23, v29, v0
	v_mul_f16_e32 v24, 0x3a52, v18
	v_mul_f16_e32 v19, 0x3a52, v19
	;; [unrolled: 1-line block ×7, first 2 shown]
	v_add_f16_e32 v0, v11, v26
	v_add_f16_e32 v18, v22, v32
	v_mul_f16_e32 v35, 0x3b00, v10
	v_fmamk_f16 v20, v20, 0x2b26, v24
	v_fmamk_f16 v21, v21, 0x2b26, v19
	v_fma_f16 v26, v25, 0x39e0, -v28
	v_fma_f16 v28, v27, 0x39e0, -v29
	;; [unrolled: 1-line block ×4, first 2 shown]
	v_fmamk_f16 v25, v8, 0x3574, v30
	v_fmamk_f16 v27, v9, 0x3574, v31
	v_fma_f16 v29, v7, 0x3b00, -v30
	v_fma_f16 v30, v8, 0xb574, -v34
	v_fmamk_f16 v7, v11, 0xbcab, v0
	v_fmamk_f16 v8, v22, 0xbcab, v18
	v_fma_f16 v10, v10, 0x3b00, -v31
	v_fma_f16 v31, v9, 0xb574, -v35
	v_fmac_f16_e32 v25, 0x370e, v12
	v_fmac_f16_e32 v27, 0x370e, v23
	;; [unrolled: 1-line block ×4, first 2 shown]
	v_add_f16_e32 v12, v20, v7
	v_add_f16_e32 v34, v21, v8
	v_fmac_f16_e32 v10, 0x370e, v23
	v_fmac_f16_e32 v31, 0x370e, v23
	v_add_f16_e32 v11, v26, v7
	v_add_f16_e32 v23, v24, v7
	;; [unrolled: 1-line block ×5, first 2 shown]
	v_sub_f16_e32 v19, v34, v25
	v_add_f16_e32 v8, v31, v23
	v_sub_f16_e32 v21, v24, v30
	v_sub_f16_e32 v9, v11, v10
	v_add_f16_e32 v22, v29, v20
	v_add_f16_e32 v10, v10, v11
	v_sub_f16_e32 v20, v20, v29
	v_sub_f16_e32 v11, v23, v31
	v_add_f16_e32 v23, v30, v24
	v_sub_f16_e32 v12, v12, v27
	v_add_f16_e32 v24, v25, v34
	v_pack_b32_f16 v32, v0, v18
	v_pack_b32_f16 v25, v7, v19
	;; [unrolled: 1-line block ×7, first 2 shown]
	ds_store_2addr_b32 v33, v32, v25 offset1:8
	ds_store_2addr_b32 v33, v26, v27 offset0:16 offset1:24
	ds_store_2addr_b32 v33, v28, v29 offset0:32 offset1:40
	ds_store_b32 v33, v30 offset:192
	global_wb scope:SCOPE_SE
	s_wait_dscnt 0x0
	s_barrier_signal -1
	s_barrier_wait -1
	global_inv scope:SCOPE_SE
	s_and_saveexec_b32 s1, s0
	s_cbranch_execz .LBB0_17
; %bb.16:
	v_add_nc_u32_e32 v11, 0x400, v15
	ds_load_b32 v0, v14
	ds_load_2addr_b32 v[7:8], v15 offset0:56 offset1:112
	ds_load_2addr_b32 v[9:10], v15 offset0:168 offset1:224
	;; [unrolled: 1-line block ×3, first 2 shown]
	ds_load_b32 v16, v15 offset:1568
	s_wait_dscnt 0x4
	v_lshrrev_b32_e32 v18, 16, v0
	s_wait_dscnt 0x3
	v_lshrrev_b32_e32 v19, 16, v7
	v_lshrrev_b32_e32 v21, 16, v8
	s_wait_dscnt 0x2
	v_lshrrev_b32_e32 v22, 16, v9
	;; [unrolled: 3-line block ×4, first 2 shown]
.LBB0_17:
	s_wait_alu 0xfffe
	s_or_b32 exec_lo, exec_lo, s1
	global_wb scope:SCOPE_SE
	s_barrier_signal -1
	s_barrier_wait -1
	global_inv scope:SCOPE_SE
	s_and_saveexec_b32 s1, s0
	s_cbranch_execz .LBB0_19
; %bb.18:
	v_subrev_nc_u32_e32 v25, 56, v3
	v_mov_b32_e32 v26, 0
	s_delay_alu instid0(VALU_DEP_2) | instskip(NEXT) | instid1(VALU_DEP_1)
	v_cndmask_b32_e64 v25, v25, v3, s0
	v_mul_i32_i24_e32 v25, 7, v25
	s_delay_alu instid0(VALU_DEP_1) | instskip(NEXT) | instid1(VALU_DEP_1)
	v_lshlrev_b64_e32 v[25:26], 2, v[25:26]
	v_add_co_u32 v29, s0, s8, v25
	s_wait_alu 0xf1ff
	s_delay_alu instid0(VALU_DEP_2)
	v_add_co_ci_u32_e64 v30, s0, s9, v26, s0
	s_clause 0x1
	global_load_b128 v[25:28], v[29:30], off offset:192
	global_load_b96 v[29:31], v[29:30], off offset:208
	s_wait_loadcnt 0x1
	v_lshrrev_b32_e32 v32, 16, v25
	v_lshrrev_b32_e32 v33, 16, v26
	v_lshrrev_b32_e32 v34, 16, v28
	v_lshrrev_b32_e32 v35, 16, v27
	s_wait_loadcnt 0x0
	v_lshrrev_b32_e32 v36, 16, v30
	v_lshrrev_b32_e32 v37, 16, v29
	;; [unrolled: 1-line block ×3, first 2 shown]
	v_mul_f16_e32 v39, v20, v34
	v_mul_f16_e32 v40, v8, v33
	;; [unrolled: 1-line block ×14, first 2 shown]
	v_fma_f16 v10, v10, v28, -v39
	v_fmac_f16_e32 v40, v21, v26
	v_fmac_f16_e32 v41, v24, v30
	v_fma_f16 v7, v7, v25, -v42
	v_fma_f16 v11, v11, v29, -v43
	v_fmac_f16_e32 v44, v22, v27
	v_fmac_f16_e32 v45, v17, v31
	;; [unrolled: 1-line block ×4, first 2 shown]
	v_fma_f16 v9, v9, v27, -v35
	v_fma_f16 v16, v16, v31, -v38
	v_fmac_f16_e32 v34, v20, v28
	v_fma_f16 v8, v8, v26, -v33
	v_fma_f16 v12, v12, v30, -v36
	v_sub_f16_e32 v10, v0, v10
	v_sub_f16_e32 v17, v40, v41
	;; [unrolled: 1-line block ×10, first 2 shown]
	v_add_f16_e32 v25, v20, v16
	v_fma_f16 v0, v0, 2.0, -v10
	v_add_f16_e32 v26, v21, v12
	v_fma_f16 v8, v8, 2.0, -v12
	v_fma_f16 v12, v32, 2.0, -v20
	;; [unrolled: 1-line block ×11, first 2 shown]
	v_fmamk_f16 v16, v24, 0x39a8, v23
	v_sub_f16_e32 v8, v0, v8
	v_sub_f16_e32 v19, v12, v19
	;; [unrolled: 1-line block ×4, first 2 shown]
	v_fmamk_f16 v27, v25, 0x39a8, v26
	v_fmamk_f16 v28, v11, 0xb9a8, v10
	;; [unrolled: 1-line block ×3, first 2 shown]
	v_fmac_f16_e32 v16, 0xb9a8, v25
	v_add_f16_e32 v25, v17, v9
	v_fma_f16 v0, v0, 2.0, -v8
	v_fma_f16 v7, v7, 2.0, -v9
	;; [unrolled: 1-line block ×4, first 2 shown]
	v_fmac_f16_e32 v27, 0x39a8, v24
	v_sub_f16_e32 v24, v8, v19
	v_fmac_f16_e32 v28, 0xb9a8, v20
	v_fmac_f16_e32 v29, 0x39a8, v11
	v_sub_f16_e32 v7, v0, v7
	v_sub_f16_e32 v11, v9, v12
	v_fma_f16 v18, v23, 2.0, -v16
	v_fma_f16 v19, v26, 2.0, -v27
	;; [unrolled: 1-line block ×8, first 2 shown]
	v_pack_b32_f16 v8, v8, v12
	v_pack_b32_f16 v12, v18, v19
	;; [unrolled: 1-line block ×3, first 2 shown]
	v_add_nc_u32_e32 v22, 0x400, v15
	v_pack_b32_f16 v17, v24, v25
	v_pack_b32_f16 v11, v28, v29
	;; [unrolled: 1-line block ×5, first 2 shown]
	ds_store_2addr_b32 v15, v12, v7 offset0:168 offset1:224
	ds_store_2addr_b32 v22, v11, v17 offset0:24 offset1:80
	;; [unrolled: 1-line block ×3, first 2 shown]
	ds_store_b32 v14, v0
	ds_store_b32 v15, v9 offset:1568
.LBB0_19:
	s_wait_alu 0xfffe
	s_or_b32 exec_lo, exec_lo, s1
	global_wb scope:SCOPE_SE
	s_wait_dscnt 0x0
	s_barrier_signal -1
	s_barrier_wait -1
	global_inv scope:SCOPE_SE
	ds_load_b32 v12, v14
	v_sub_nc_u32_e32 v0, v13, v4
	s_mov_b32 s1, exec_lo
                                        ; implicit-def: $vgpr11
                                        ; implicit-def: $vgpr9
                                        ; implicit-def: $vgpr10
                                        ; implicit-def: $vgpr7_vgpr8
	s_wait_dscnt 0x0
	v_lshrrev_b32_e32 v15, 16, v12
	v_cmpx_ne_u32_e32 0, v3
	s_wait_alu 0xfffe
	s_xor_b32 s1, exec_lo, s1
	s_cbranch_execz .LBB0_21
; %bb.20:
	v_mov_b32_e32 v4, 0
	s_delay_alu instid0(VALU_DEP_1) | instskip(NEXT) | instid1(VALU_DEP_1)
	v_lshlrev_b64_e32 v[7:8], 2, v[3:4]
	v_add_co_u32 v7, s0, s8, v7
	s_wait_alu 0xf1ff
	s_delay_alu instid0(VALU_DEP_2)
	v_add_co_ci_u32_e64 v8, s0, s9, v8, s0
	global_load_b32 v7, v[7:8], off offset:1760
	ds_load_b32 v8, v0 offset:1792
	s_wait_dscnt 0x0
	v_lshrrev_b32_e32 v9, 16, v8
	v_sub_f16_e32 v10, v12, v8
	v_add_f16_e32 v8, v8, v12
	s_delay_alu instid0(VALU_DEP_3) | instskip(SKIP_1) | instid1(VALU_DEP_4)
	v_add_f16_e32 v11, v9, v15
	v_sub_f16_e32 v9, v15, v9
	v_mul_f16_e32 v15, 0.5, v10
	s_delay_alu instid0(VALU_DEP_3) | instskip(NEXT) | instid1(VALU_DEP_3)
	v_mul_f16_e32 v11, 0.5, v11
	v_mul_f16_e32 v9, 0.5, v9
	s_wait_loadcnt 0x0
	v_lshrrev_b32_e32 v10, 16, v7
	s_delay_alu instid0(VALU_DEP_1) | instskip(NEXT) | instid1(VALU_DEP_3)
	v_mul_f16_e32 v12, v10, v15
	v_fma_f16 v16, v11, v10, v9
	s_delay_alu instid0(VALU_DEP_2) | instskip(SKIP_2) | instid1(VALU_DEP_4)
	v_fma_f16 v17, 0.5, v8, v12
	v_fma_f16 v8, v8, 0.5, -v12
	v_fma_f16 v12, v11, v10, -v9
	v_fma_f16 v10, -v7, v15, v16
	s_delay_alu instid0(VALU_DEP_4) | instskip(NEXT) | instid1(VALU_DEP_4)
	v_fmac_f16_e32 v17, v7, v11
	v_fma_f16 v9, -v7, v11, v8
	s_delay_alu instid0(VALU_DEP_4)
	v_fma_f16 v11, -v7, v15, v12
	v_dual_mov_b32 v8, v4 :: v_dual_mov_b32 v7, v3
	ds_store_b16 v14, v17
                                        ; implicit-def: $vgpr15
                                        ; implicit-def: $vgpr12
.LBB0_21:
	s_wait_alu 0xfffe
	s_and_not1_saveexec_b32 s0, s1
	s_cbranch_execz .LBB0_23
; %bb.22:
	ds_load_u16 v4, v13 offset:898
	v_dual_mov_b32 v7, 0 :: v_dual_mov_b32 v10, 0
	v_add_f16_e32 v16, v15, v12
	v_sub_f16_e32 v9, v12, v15
	v_dual_mov_b32 v8, 0 :: v_dual_mov_b32 v11, 0
	s_wait_dscnt 0x0
	v_xor_b32_e32 v4, 0x8000, v4
	ds_store_b16 v14, v16
	ds_store_b16 v13, v4 offset:898
.LBB0_23:
	s_wait_alu 0xfffe
	s_or_b32 exec_lo, exec_lo, s0
	v_lshlrev_b64_e32 v[7:8], 2, v[7:8]
	s_add_nc_u64 s[0:1], s[8:9], 0x6e0
	v_perm_b32 v9, v11, v9, 0x5040100
	s_wait_alu 0xfffe
	s_delay_alu instid0(VALU_DEP_2)
	v_add_co_u32 v7, s0, s0, v7
	s_wait_alu 0xf1ff
	v_add_co_ci_u32_e64 v8, s0, s1, v8, s0
	s_mov_b32 s1, exec_lo
	s_clause 0x1
	global_load_b32 v4, v[7:8], off offset:256
	global_load_b32 v12, v[7:8], off offset:512
	ds_store_b16 v14, v10 offset:2
	ds_store_b32 v0, v9 offset:1792
	ds_load_b32 v9, v14 offset:256
	ds_load_b32 v10, v0 offset:1536
	s_wait_dscnt 0x0
	v_pk_add_f16 v11, v9, v10 neg_lo:[0,1] neg_hi:[0,1]
	v_pk_add_f16 v9, v9, v10
	s_delay_alu instid0(VALU_DEP_1) | instskip(SKIP_1) | instid1(VALU_DEP_2)
	v_bfi_b32 v10, 0xffff, v11, v9
	v_bfi_b32 v9, 0xffff, v9, v11
	v_pk_mul_f16 v10, v10, 0.5 op_sel_hi:[1,0]
	s_delay_alu instid0(VALU_DEP_2) | instskip(SKIP_1) | instid1(VALU_DEP_1)
	v_pk_mul_f16 v9, v9, 0.5 op_sel_hi:[1,0]
	s_wait_loadcnt 0x1
	v_pk_fma_f16 v11, v4, v10, v9 op_sel:[1,0,0]
	v_pk_mul_f16 v15, v4, v10 op_sel_hi:[0,1]
	v_pk_fma_f16 v16, v4, v10, v9 op_sel:[1,0,0] neg_lo:[1,0,0] neg_hi:[1,0,0]
	v_pk_fma_f16 v4, v4, v10, v9 op_sel:[1,0,0] neg_lo:[0,0,1] neg_hi:[0,0,1]
	s_delay_alu instid0(VALU_DEP_3) | instskip(SKIP_1) | instid1(VALU_DEP_4)
	v_pk_add_f16 v9, v11, v15 op_sel:[0,1] op_sel_hi:[1,0]
	v_pk_add_f16 v10, v11, v15 op_sel:[0,1] op_sel_hi:[1,0] neg_lo:[0,1] neg_hi:[0,1]
	v_pk_add_f16 v11, v16, v15 op_sel:[0,1] op_sel_hi:[1,0] neg_lo:[0,1] neg_hi:[0,1]
	s_delay_alu instid0(VALU_DEP_4) | instskip(NEXT) | instid1(VALU_DEP_3)
	v_pk_add_f16 v4, v4, v15 op_sel:[0,1] op_sel_hi:[1,0] neg_lo:[0,1] neg_hi:[0,1]
	v_bfi_b32 v9, 0xffff, v9, v10
	s_delay_alu instid0(VALU_DEP_2)
	v_bfi_b32 v4, 0xffff, v11, v4
	ds_store_b32 v14, v9 offset:256
	ds_store_b32 v0, v4 offset:1536
	ds_load_b32 v4, v14 offset:512
	ds_load_b32 v9, v0 offset:1280
	s_wait_dscnt 0x0
	v_pk_add_f16 v10, v4, v9 neg_lo:[0,1] neg_hi:[0,1]
	v_pk_add_f16 v4, v4, v9
	s_delay_alu instid0(VALU_DEP_1) | instskip(SKIP_1) | instid1(VALU_DEP_2)
	v_bfi_b32 v9, 0xffff, v10, v4
	v_bfi_b32 v4, 0xffff, v4, v10
	v_pk_mul_f16 v9, v9, 0.5 op_sel_hi:[1,0]
	s_delay_alu instid0(VALU_DEP_2) | instskip(SKIP_1) | instid1(VALU_DEP_2)
	v_pk_mul_f16 v4, v4, 0.5 op_sel_hi:[1,0]
	s_wait_loadcnt 0x0
	v_pk_mul_f16 v11, v12, v9 op_sel_hi:[0,1]
	s_delay_alu instid0(VALU_DEP_2) | instskip(SKIP_2) | instid1(VALU_DEP_3)
	v_pk_fma_f16 v10, v12, v9, v4 op_sel:[1,0,0]
	v_pk_fma_f16 v15, v12, v9, v4 op_sel:[1,0,0] neg_lo:[1,0,0] neg_hi:[1,0,0]
	v_pk_fma_f16 v4, v12, v9, v4 op_sel:[1,0,0] neg_lo:[0,0,1] neg_hi:[0,0,1]
	v_pk_add_f16 v9, v10, v11 op_sel:[0,1] op_sel_hi:[1,0]
	v_pk_add_f16 v10, v10, v11 op_sel:[0,1] op_sel_hi:[1,0] neg_lo:[0,1] neg_hi:[0,1]
	s_delay_alu instid0(VALU_DEP_4) | instskip(NEXT) | instid1(VALU_DEP_4)
	v_pk_add_f16 v12, v15, v11 op_sel:[0,1] op_sel_hi:[1,0] neg_lo:[0,1] neg_hi:[0,1]
	v_pk_add_f16 v4, v4, v11 op_sel:[0,1] op_sel_hi:[1,0] neg_lo:[0,1] neg_hi:[0,1]
	v_or_b32_e32 v11, 0xc0, v3
	s_delay_alu instid0(VALU_DEP_4) | instskip(NEXT) | instid1(VALU_DEP_3)
	v_bfi_b32 v9, 0xffff, v9, v10
	v_bfi_b32 v4, 0xffff, v12, v4
	ds_store_b32 v14, v9 offset:512
	ds_store_b32 v0, v4 offset:1280
	v_cmpx_gt_u32_e32 0xe0, v11
	s_cbranch_execz .LBB0_25
; %bb.24:
	global_load_b32 v4, v[7:8], off offset:768
	ds_load_b32 v7, v14 offset:768
	ds_load_b32 v8, v0 offset:1024
	s_wait_dscnt 0x0
	v_pk_add_f16 v9, v7, v8 neg_lo:[0,1] neg_hi:[0,1]
	v_pk_add_f16 v7, v7, v8
	s_delay_alu instid0(VALU_DEP_1) | instskip(SKIP_1) | instid1(VALU_DEP_2)
	v_bfi_b32 v8, 0xffff, v9, v7
	v_bfi_b32 v7, 0xffff, v7, v9
	v_pk_mul_f16 v8, v8, 0.5 op_sel_hi:[1,0]
	s_delay_alu instid0(VALU_DEP_2) | instskip(SKIP_1) | instid1(VALU_DEP_1)
	v_pk_mul_f16 v7, v7, 0.5 op_sel_hi:[1,0]
	s_wait_loadcnt 0x0
	v_pk_fma_f16 v9, v4, v8, v7 op_sel:[1,0,0]
	v_pk_mul_f16 v10, v4, v8 op_sel_hi:[0,1]
	v_pk_fma_f16 v11, v4, v8, v7 op_sel:[1,0,0] neg_lo:[1,0,0] neg_hi:[1,0,0]
	v_pk_fma_f16 v4, v4, v8, v7 op_sel:[1,0,0] neg_lo:[0,0,1] neg_hi:[0,0,1]
	s_delay_alu instid0(VALU_DEP_3) | instskip(SKIP_1) | instid1(VALU_DEP_4)
	v_pk_add_f16 v7, v9, v10 op_sel:[0,1] op_sel_hi:[1,0]
	v_pk_add_f16 v8, v9, v10 op_sel:[0,1] op_sel_hi:[1,0] neg_lo:[0,1] neg_hi:[0,1]
	v_pk_add_f16 v9, v11, v10 op_sel:[0,1] op_sel_hi:[1,0] neg_lo:[0,1] neg_hi:[0,1]
	s_delay_alu instid0(VALU_DEP_4) | instskip(NEXT) | instid1(VALU_DEP_3)
	v_pk_add_f16 v4, v4, v10 op_sel:[0,1] op_sel_hi:[1,0] neg_lo:[0,1] neg_hi:[0,1]
	v_bfi_b32 v7, 0xffff, v7, v8
	s_delay_alu instid0(VALU_DEP_2)
	v_bfi_b32 v4, 0xffff, v9, v4
	ds_store_b32 v14, v7 offset:768
	ds_store_b32 v0, v4 offset:1024
.LBB0_25:
	s_wait_alu 0xfffe
	s_or_b32 exec_lo, exec_lo, s1
	global_wb scope:SCOPE_SE
	s_wait_dscnt 0x0
	s_barrier_signal -1
	s_barrier_wait -1
	global_inv scope:SCOPE_SE
	s_and_saveexec_b32 s0, vcc_lo
	s_cbranch_execz .LBB0_28
; %bb.26:
	v_mul_lo_u32 v0, s3, v5
	v_mul_lo_u32 v4, s2, v6
	v_mad_co_u64_u32 v[6:7], null, s2, v5, 0
	v_lshl_add_u32 v5, v3, 2, v13
	ds_load_2addr_stride64_b32 v[18:19], v5 offset1:1
	ds_load_2addr_stride64_b32 v[22:23], v5 offset0:2 offset1:3
	v_add3_u32 v7, v7, v4, v0
	v_mov_b32_e32 v4, 0
	v_lshlrev_b64_e32 v[0:1], 2, v[1:2]
	v_add_nc_u32_e32 v8, 64, v3
	v_add_nc_u32_e32 v10, 0x80, v3
	v_lshlrev_b64_e32 v[6:7], 2, v[6:7]
	v_mov_b32_e32 v11, v4
	v_lshlrev_b64_e32 v[12:13], 2, v[3:4]
	v_dual_mov_b32 v9, v4 :: v_dual_add_nc_u32 v16, 0x140, v3
	v_mov_b32_e32 v17, v4
	v_add_co_u32 v2, vcc_lo, s6, v6
	s_wait_alu 0xfffd
	v_add_co_ci_u32_e32 v14, vcc_lo, s7, v7, vcc_lo
	v_lshlrev_b64_e32 v[6:7], 2, v[8:9]
	s_delay_alu instid0(VALU_DEP_3) | instskip(SKIP_1) | instid1(VALU_DEP_3)
	v_add_co_u32 v0, vcc_lo, v2, v0
	s_wait_alu 0xfffd
	v_add_co_ci_u32_e32 v1, vcc_lo, v14, v1, vcc_lo
	v_lshlrev_b64_e32 v[8:9], 2, v[10:11]
	s_delay_alu instid0(VALU_DEP_3) | instskip(SKIP_1) | instid1(VALU_DEP_3)
	v_add_co_u32 v10, vcc_lo, v0, v12
	s_wait_alu 0xfffd
	v_add_co_ci_u32_e32 v11, vcc_lo, v1, v13, vcc_lo
	v_dual_mov_b32 v13, v4 :: v_dual_add_nc_u32 v12, 0xc0, v3
	v_dual_mov_b32 v15, v4 :: v_dual_add_nc_u32 v14, 0x100, v3
	v_add_co_u32 v6, vcc_lo, v0, v6
	s_delay_alu instid0(VALU_DEP_3)
	v_lshlrev_b64_e32 v[12:13], 2, v[12:13]
	s_wait_alu 0xfffd
	v_add_co_ci_u32_e32 v7, vcc_lo, v1, v7, vcc_lo
	v_add_co_u32 v8, vcc_lo, v0, v8
	v_lshlrev_b64_e32 v[14:15], 2, v[14:15]
	ds_load_2addr_stride64_b32 v[24:25], v5 offset0:4 offset1:5
	ds_load_b32 v2, v5 offset:1536
	v_dual_mov_b32 v21, v4 :: v_dual_add_nc_u32 v20, 0x180, v3
	s_wait_alu 0xfffd
	v_add_co_ci_u32_e32 v9, vcc_lo, v1, v9, vcc_lo
	v_add_co_u32 v12, vcc_lo, v0, v12
	v_lshlrev_b64_e32 v[16:17], 2, v[16:17]
	s_wait_alu 0xfffd
	v_add_co_ci_u32_e32 v13, vcc_lo, v1, v13, vcc_lo
	v_add_co_u32 v14, vcc_lo, v0, v14
	v_lshlrev_b64_e32 v[20:21], 2, v[20:21]
	s_wait_alu 0xfffd
	v_add_co_ci_u32_e32 v15, vcc_lo, v1, v15, vcc_lo
	v_add_co_u32 v16, vcc_lo, v0, v16
	s_wait_alu 0xfffd
	v_add_co_ci_u32_e32 v17, vcc_lo, v1, v17, vcc_lo
	v_add_co_u32 v20, vcc_lo, v0, v20
	s_wait_alu 0xfffd
	v_add_co_ci_u32_e32 v21, vcc_lo, v1, v21, vcc_lo
	v_cmp_eq_u32_e32 vcc_lo, 63, v3
	s_wait_dscnt 0x3
	s_clause 0x1
	global_store_b32 v[10:11], v18, off
	global_store_b32 v[6:7], v19, off
	s_wait_dscnt 0x2
	s_clause 0x1
	global_store_b32 v[8:9], v22, off
	global_store_b32 v[12:13], v23, off
	;; [unrolled: 4-line block ×3, first 2 shown]
	s_wait_dscnt 0x0
	global_store_b32 v[20:21], v2, off
	s_and_b32 exec_lo, exec_lo, vcc_lo
	s_cbranch_execz .LBB0_28
; %bb.27:
	ds_load_b32 v2, v5 offset:1540
	s_wait_dscnt 0x0
	global_store_b32 v[0:1], v2, off offset:1792
.LBB0_28:
	s_nop 0
	s_sendmsg sendmsg(MSG_DEALLOC_VGPRS)
	s_endpgm
	.section	.rodata,"a",@progbits
	.p2align	6, 0x0
	.amdhsa_kernel fft_rtc_fwd_len448_factors_8_7_8_wgs_128_tpt_64_half_op_CI_CI_unitstride_sbrr_R2C_dirReg
		.amdhsa_group_segment_fixed_size 0
		.amdhsa_private_segment_fixed_size 0
		.amdhsa_kernarg_size 104
		.amdhsa_user_sgpr_count 2
		.amdhsa_user_sgpr_dispatch_ptr 0
		.amdhsa_user_sgpr_queue_ptr 0
		.amdhsa_user_sgpr_kernarg_segment_ptr 1
		.amdhsa_user_sgpr_dispatch_id 0
		.amdhsa_user_sgpr_private_segment_size 0
		.amdhsa_wavefront_size32 1
		.amdhsa_uses_dynamic_stack 0
		.amdhsa_enable_private_segment 0
		.amdhsa_system_sgpr_workgroup_id_x 1
		.amdhsa_system_sgpr_workgroup_id_y 0
		.amdhsa_system_sgpr_workgroup_id_z 0
		.amdhsa_system_sgpr_workgroup_info 0
		.amdhsa_system_vgpr_workitem_id 0
		.amdhsa_next_free_vgpr 46
		.amdhsa_next_free_sgpr 39
		.amdhsa_reserve_vcc 1
		.amdhsa_float_round_mode_32 0
		.amdhsa_float_round_mode_16_64 0
		.amdhsa_float_denorm_mode_32 3
		.amdhsa_float_denorm_mode_16_64 3
		.amdhsa_fp16_overflow 0
		.amdhsa_workgroup_processor_mode 1
		.amdhsa_memory_ordered 1
		.amdhsa_forward_progress 0
		.amdhsa_round_robin_scheduling 0
		.amdhsa_exception_fp_ieee_invalid_op 0
		.amdhsa_exception_fp_denorm_src 0
		.amdhsa_exception_fp_ieee_div_zero 0
		.amdhsa_exception_fp_ieee_overflow 0
		.amdhsa_exception_fp_ieee_underflow 0
		.amdhsa_exception_fp_ieee_inexact 0
		.amdhsa_exception_int_div_zero 0
	.end_amdhsa_kernel
	.text
.Lfunc_end0:
	.size	fft_rtc_fwd_len448_factors_8_7_8_wgs_128_tpt_64_half_op_CI_CI_unitstride_sbrr_R2C_dirReg, .Lfunc_end0-fft_rtc_fwd_len448_factors_8_7_8_wgs_128_tpt_64_half_op_CI_CI_unitstride_sbrr_R2C_dirReg
                                        ; -- End function
	.section	.AMDGPU.csdata,"",@progbits
; Kernel info:
; codeLenInByte = 5680
; NumSgprs: 41
; NumVgprs: 46
; ScratchSize: 0
; MemoryBound: 0
; FloatMode: 240
; IeeeMode: 1
; LDSByteSize: 0 bytes/workgroup (compile time only)
; SGPRBlocks: 5
; VGPRBlocks: 5
; NumSGPRsForWavesPerEU: 41
; NumVGPRsForWavesPerEU: 46
; Occupancy: 16
; WaveLimiterHint : 1
; COMPUTE_PGM_RSRC2:SCRATCH_EN: 0
; COMPUTE_PGM_RSRC2:USER_SGPR: 2
; COMPUTE_PGM_RSRC2:TRAP_HANDLER: 0
; COMPUTE_PGM_RSRC2:TGID_X_EN: 1
; COMPUTE_PGM_RSRC2:TGID_Y_EN: 0
; COMPUTE_PGM_RSRC2:TGID_Z_EN: 0
; COMPUTE_PGM_RSRC2:TIDIG_COMP_CNT: 0
	.text
	.p2alignl 7, 3214868480
	.fill 96, 4, 3214868480
	.type	__hip_cuid_ce1238067f7c13b3,@object ; @__hip_cuid_ce1238067f7c13b3
	.section	.bss,"aw",@nobits
	.globl	__hip_cuid_ce1238067f7c13b3
__hip_cuid_ce1238067f7c13b3:
	.byte	0                               ; 0x0
	.size	__hip_cuid_ce1238067f7c13b3, 1

	.ident	"AMD clang version 19.0.0git (https://github.com/RadeonOpenCompute/llvm-project roc-6.4.0 25133 c7fe45cf4b819c5991fe208aaa96edf142730f1d)"
	.section	".note.GNU-stack","",@progbits
	.addrsig
	.addrsig_sym __hip_cuid_ce1238067f7c13b3
	.amdgpu_metadata
---
amdhsa.kernels:
  - .args:
      - .actual_access:  read_only
        .address_space:  global
        .offset:         0
        .size:           8
        .value_kind:     global_buffer
      - .offset:         8
        .size:           8
        .value_kind:     by_value
      - .actual_access:  read_only
        .address_space:  global
        .offset:         16
        .size:           8
        .value_kind:     global_buffer
      - .actual_access:  read_only
        .address_space:  global
        .offset:         24
        .size:           8
        .value_kind:     global_buffer
      - .actual_access:  read_only
        .address_space:  global
        .offset:         32
        .size:           8
        .value_kind:     global_buffer
      - .offset:         40
        .size:           8
        .value_kind:     by_value
      - .actual_access:  read_only
        .address_space:  global
        .offset:         48
        .size:           8
        .value_kind:     global_buffer
      - .actual_access:  read_only
        .address_space:  global
        .offset:         56
        .size:           8
        .value_kind:     global_buffer
      - .offset:         64
        .size:           4
        .value_kind:     by_value
      - .actual_access:  read_only
        .address_space:  global
        .offset:         72
        .size:           8
        .value_kind:     global_buffer
      - .actual_access:  read_only
        .address_space:  global
        .offset:         80
        .size:           8
        .value_kind:     global_buffer
      - .actual_access:  read_only
        .address_space:  global
        .offset:         88
        .size:           8
        .value_kind:     global_buffer
      - .actual_access:  write_only
        .address_space:  global
        .offset:         96
        .size:           8
        .value_kind:     global_buffer
    .group_segment_fixed_size: 0
    .kernarg_segment_align: 8
    .kernarg_segment_size: 104
    .language:       OpenCL C
    .language_version:
      - 2
      - 0
    .max_flat_workgroup_size: 128
    .name:           fft_rtc_fwd_len448_factors_8_7_8_wgs_128_tpt_64_half_op_CI_CI_unitstride_sbrr_R2C_dirReg
    .private_segment_fixed_size: 0
    .sgpr_count:     41
    .sgpr_spill_count: 0
    .symbol:         fft_rtc_fwd_len448_factors_8_7_8_wgs_128_tpt_64_half_op_CI_CI_unitstride_sbrr_R2C_dirReg.kd
    .uniform_work_group_size: 1
    .uses_dynamic_stack: false
    .vgpr_count:     46
    .vgpr_spill_count: 0
    .wavefront_size: 32
    .workgroup_processor_mode: 1
amdhsa.target:   amdgcn-amd-amdhsa--gfx1201
amdhsa.version:
  - 1
  - 2
...

	.end_amdgpu_metadata
